;; amdgpu-corpus repo=ROCm/rocFFT kind=compiled arch=gfx1030 opt=O3
	.text
	.amdgcn_target "amdgcn-amd-amdhsa--gfx1030"
	.amdhsa_code_object_version 6
	.protected	fft_rtc_fwd_len208_factors_13_16_wgs_64_tpt_16_halfLds_sp_ip_CI_unitstride_sbrr_R2C_dirReg ; -- Begin function fft_rtc_fwd_len208_factors_13_16_wgs_64_tpt_16_halfLds_sp_ip_CI_unitstride_sbrr_R2C_dirReg
	.globl	fft_rtc_fwd_len208_factors_13_16_wgs_64_tpt_16_halfLds_sp_ip_CI_unitstride_sbrr_R2C_dirReg
	.p2align	8
	.type	fft_rtc_fwd_len208_factors_13_16_wgs_64_tpt_16_halfLds_sp_ip_CI_unitstride_sbrr_R2C_dirReg,@function
fft_rtc_fwd_len208_factors_13_16_wgs_64_tpt_16_halfLds_sp_ip_CI_unitstride_sbrr_R2C_dirReg: ; @fft_rtc_fwd_len208_factors_13_16_wgs_64_tpt_16_halfLds_sp_ip_CI_unitstride_sbrr_R2C_dirReg
; %bb.0:
	s_clause 0x2
	s_load_dwordx4 s[8:11], s[4:5], 0x0
	s_load_dwordx2 s[2:3], s[4:5], 0x50
	s_load_dwordx2 s[12:13], s[4:5], 0x18
	v_lshrrev_b32_e32 v7, 4, v0
	v_mov_b32_e32 v3, 0
	v_mov_b32_e32 v1, 0
	;; [unrolled: 1-line block ×3, first 2 shown]
	v_lshl_or_b32 v5, s6, 2, v7
	v_mov_b32_e32 v6, v3
	s_waitcnt lgkmcnt(0)
	v_cmp_lt_u64_e64 s0, s[10:11], 2
	s_and_b32 vcc_lo, exec_lo, s0
	s_cbranch_vccnz .LBB0_8
; %bb.1:
	s_load_dwordx2 s[0:1], s[4:5], 0x10
	v_mov_b32_e32 v1, 0
	s_add_u32 s6, s12, 8
	v_mov_b32_e32 v2, 0
	s_addc_u32 s7, s13, 0
	s_mov_b64 s[16:17], 1
	s_waitcnt lgkmcnt(0)
	s_add_u32 s14, s0, 8
	s_addc_u32 s15, s1, 0
.LBB0_2:                                ; =>This Inner Loop Header: Depth=1
	s_load_dwordx2 s[18:19], s[14:15], 0x0
                                        ; implicit-def: $vgpr9_vgpr10
	s_mov_b32 s0, exec_lo
	s_waitcnt lgkmcnt(0)
	v_or_b32_e32 v4, s19, v6
	v_cmpx_ne_u64_e32 0, v[3:4]
	s_xor_b32 s1, exec_lo, s0
	s_cbranch_execz .LBB0_4
; %bb.3:                                ;   in Loop: Header=BB0_2 Depth=1
	v_cvt_f32_u32_e32 v4, s18
	v_cvt_f32_u32_e32 v8, s19
	s_sub_u32 s0, 0, s18
	s_subb_u32 s20, 0, s19
	v_fmac_f32_e32 v4, 0x4f800000, v8
	v_rcp_f32_e32 v4, v4
	v_mul_f32_e32 v4, 0x5f7ffffc, v4
	v_mul_f32_e32 v8, 0x2f800000, v4
	v_trunc_f32_e32 v8, v8
	v_fmac_f32_e32 v4, 0xcf800000, v8
	v_cvt_u32_f32_e32 v8, v8
	v_cvt_u32_f32_e32 v4, v4
	v_mul_lo_u32 v9, s0, v8
	v_mul_hi_u32 v10, s0, v4
	v_mul_lo_u32 v11, s20, v4
	v_add_nc_u32_e32 v9, v10, v9
	v_mul_lo_u32 v10, s0, v4
	v_add_nc_u32_e32 v9, v9, v11
	v_mul_hi_u32 v11, v4, v10
	v_mul_lo_u32 v12, v4, v9
	v_mul_hi_u32 v13, v4, v9
	v_mul_hi_u32 v14, v8, v10
	v_mul_lo_u32 v10, v8, v10
	v_mul_hi_u32 v15, v8, v9
	v_mul_lo_u32 v9, v8, v9
	v_add_co_u32 v11, vcc_lo, v11, v12
	v_add_co_ci_u32_e32 v12, vcc_lo, 0, v13, vcc_lo
	v_add_co_u32 v10, vcc_lo, v11, v10
	v_add_co_ci_u32_e32 v10, vcc_lo, v12, v14, vcc_lo
	v_add_co_ci_u32_e32 v11, vcc_lo, 0, v15, vcc_lo
	v_add_co_u32 v9, vcc_lo, v10, v9
	v_add_co_ci_u32_e32 v10, vcc_lo, 0, v11, vcc_lo
	v_add_co_u32 v4, vcc_lo, v4, v9
	v_add_co_ci_u32_e32 v8, vcc_lo, v8, v10, vcc_lo
	v_mul_hi_u32 v9, s0, v4
	v_mul_lo_u32 v11, s20, v4
	v_mul_lo_u32 v10, s0, v8
	v_add_nc_u32_e32 v9, v9, v10
	v_mul_lo_u32 v10, s0, v4
	v_add_nc_u32_e32 v9, v9, v11
	v_mul_hi_u32 v11, v4, v10
	v_mul_lo_u32 v12, v4, v9
	v_mul_hi_u32 v13, v4, v9
	v_mul_hi_u32 v14, v8, v10
	v_mul_lo_u32 v10, v8, v10
	v_mul_hi_u32 v15, v8, v9
	v_mul_lo_u32 v9, v8, v9
	v_add_co_u32 v11, vcc_lo, v11, v12
	v_add_co_ci_u32_e32 v12, vcc_lo, 0, v13, vcc_lo
	v_add_co_u32 v10, vcc_lo, v11, v10
	v_add_co_ci_u32_e32 v10, vcc_lo, v12, v14, vcc_lo
	v_add_co_ci_u32_e32 v11, vcc_lo, 0, v15, vcc_lo
	v_add_co_u32 v9, vcc_lo, v10, v9
	v_add_co_ci_u32_e32 v10, vcc_lo, 0, v11, vcc_lo
	v_add_co_u32 v4, vcc_lo, v4, v9
	v_add_co_ci_u32_e32 v12, vcc_lo, v8, v10, vcc_lo
	v_mul_hi_u32 v14, v5, v4
	v_mad_u64_u32 v[10:11], null, v6, v4, 0
	v_mad_u64_u32 v[8:9], null, v5, v12, 0
	;; [unrolled: 1-line block ×3, first 2 shown]
	v_add_co_u32 v4, vcc_lo, v14, v8
	v_add_co_ci_u32_e32 v8, vcc_lo, 0, v9, vcc_lo
	v_add_co_u32 v4, vcc_lo, v4, v10
	v_add_co_ci_u32_e32 v4, vcc_lo, v8, v11, vcc_lo
	v_add_co_ci_u32_e32 v8, vcc_lo, 0, v13, vcc_lo
	v_add_co_u32 v4, vcc_lo, v4, v12
	v_add_co_ci_u32_e32 v10, vcc_lo, 0, v8, vcc_lo
	v_mul_lo_u32 v11, s19, v4
	v_mad_u64_u32 v[8:9], null, s18, v4, 0
	v_mul_lo_u32 v12, s18, v10
	v_sub_co_u32 v8, vcc_lo, v5, v8
	v_add3_u32 v9, v9, v12, v11
	v_sub_nc_u32_e32 v11, v6, v9
	v_subrev_co_ci_u32_e64 v11, s0, s19, v11, vcc_lo
	v_add_co_u32 v12, s0, v4, 2
	v_add_co_ci_u32_e64 v13, s0, 0, v10, s0
	v_sub_co_u32 v14, s0, v8, s18
	v_sub_co_ci_u32_e32 v9, vcc_lo, v6, v9, vcc_lo
	v_subrev_co_ci_u32_e64 v11, s0, 0, v11, s0
	v_cmp_le_u32_e32 vcc_lo, s18, v14
	v_cmp_eq_u32_e64 s0, s19, v9
	v_cndmask_b32_e64 v14, 0, -1, vcc_lo
	v_cmp_le_u32_e32 vcc_lo, s19, v11
	v_cndmask_b32_e64 v15, 0, -1, vcc_lo
	v_cmp_le_u32_e32 vcc_lo, s18, v8
	;; [unrolled: 2-line block ×3, first 2 shown]
	v_cndmask_b32_e64 v16, 0, -1, vcc_lo
	v_cmp_eq_u32_e32 vcc_lo, s19, v11
	v_cndmask_b32_e64 v8, v16, v8, s0
	v_cndmask_b32_e32 v11, v15, v14, vcc_lo
	v_add_co_u32 v14, vcc_lo, v4, 1
	v_add_co_ci_u32_e32 v15, vcc_lo, 0, v10, vcc_lo
	v_cmp_ne_u32_e32 vcc_lo, 0, v11
	v_cndmask_b32_e32 v9, v15, v13, vcc_lo
	v_cndmask_b32_e32 v11, v14, v12, vcc_lo
	v_cmp_ne_u32_e32 vcc_lo, 0, v8
	v_cndmask_b32_e32 v10, v10, v9, vcc_lo
	v_cndmask_b32_e32 v9, v4, v11, vcc_lo
.LBB0_4:                                ;   in Loop: Header=BB0_2 Depth=1
	s_andn2_saveexec_b32 s0, s1
	s_cbranch_execz .LBB0_6
; %bb.5:                                ;   in Loop: Header=BB0_2 Depth=1
	v_cvt_f32_u32_e32 v4, s18
	s_sub_i32 s1, 0, s18
	v_rcp_iflag_f32_e32 v4, v4
	v_mul_f32_e32 v4, 0x4f7ffffe, v4
	v_cvt_u32_f32_e32 v4, v4
	v_mul_lo_u32 v8, s1, v4
	v_mul_hi_u32 v8, v4, v8
	v_add_nc_u32_e32 v4, v4, v8
	v_mul_hi_u32 v4, v5, v4
	v_mul_lo_u32 v8, v4, s18
	v_add_nc_u32_e32 v9, 1, v4
	v_sub_nc_u32_e32 v8, v5, v8
	v_subrev_nc_u32_e32 v10, s18, v8
	v_cmp_le_u32_e32 vcc_lo, s18, v8
	v_cndmask_b32_e32 v8, v8, v10, vcc_lo
	v_cndmask_b32_e32 v4, v4, v9, vcc_lo
	v_mov_b32_e32 v10, v3
	v_cmp_le_u32_e32 vcc_lo, s18, v8
	v_add_nc_u32_e32 v9, 1, v4
	v_cndmask_b32_e32 v9, v4, v9, vcc_lo
.LBB0_6:                                ;   in Loop: Header=BB0_2 Depth=1
	s_or_b32 exec_lo, exec_lo, s0
	s_load_dwordx2 s[0:1], s[6:7], 0x0
	v_mul_lo_u32 v4, v10, s18
	v_mul_lo_u32 v8, v9, s19
	v_mad_u64_u32 v[11:12], null, v9, s18, 0
	s_add_u32 s16, s16, 1
	s_addc_u32 s17, s17, 0
	s_add_u32 s6, s6, 8
	s_addc_u32 s7, s7, 0
	;; [unrolled: 2-line block ×3, first 2 shown]
	v_add3_u32 v4, v12, v8, v4
	v_sub_co_u32 v5, vcc_lo, v5, v11
	v_sub_co_ci_u32_e32 v4, vcc_lo, v6, v4, vcc_lo
	s_waitcnt lgkmcnt(0)
	v_mul_lo_u32 v6, s1, v5
	v_mul_lo_u32 v4, s0, v4
	v_mad_u64_u32 v[1:2], null, s0, v5, v[1:2]
	v_cmp_ge_u64_e64 s0, s[16:17], s[10:11]
	s_and_b32 vcc_lo, exec_lo, s0
	v_add3_u32 v2, v6, v2, v4
	s_cbranch_vccnz .LBB0_9
; %bb.7:                                ;   in Loop: Header=BB0_2 Depth=1
	v_mov_b32_e32 v5, v9
	v_mov_b32_e32 v6, v10
	s_branch .LBB0_2
.LBB0_8:
	v_mov_b32_e32 v10, v6
	v_mov_b32_e32 v9, v5
.LBB0_9:
	s_lshl_b64 s[0:1], s[10:11], 3
	v_and_b32_e32 v8, 15, v0
	s_add_u32 s0, s12, s0
	s_addc_u32 s1, s13, s1
	v_mul_u32_u24_e32 v0, 0xd1, v7
	s_load_dwordx2 s[0:1], s[0:1], 0x0
	s_load_dwordx2 s[4:5], s[4:5], 0x20
	v_lshlrev_b32_e32 v0, 3, v0
	s_waitcnt lgkmcnt(0)
	v_mul_lo_u32 v3, s0, v10
	v_mul_lo_u32 v4, s1, v9
	v_mad_u64_u32 v[1:2], null, s0, v9, v[1:2]
	v_cmp_gt_u64_e32 vcc_lo, s[4:5], v[9:10]
	v_lshlrev_b32_e32 v9, 3, v8
	v_add3_u32 v2, v4, v2, v3
	v_lshlrev_b64 v[10:11], 3, v[1:2]
	s_and_saveexec_b32 s1, vcc_lo
	s_cbranch_execz .LBB0_11
; %bb.10:
	v_add_co_u32 v1, s0, s2, v10
	v_add_co_ci_u32_e64 v2, s0, s3, v11, s0
	v_add3_u32 v7, 0, v0, v9
	v_add_co_u32 v1, s0, v1, v9
	v_add_co_ci_u32_e64 v2, s0, 0, v2, s0
	s_clause 0xc
	global_load_dwordx2 v[3:4], v[1:2], off
	global_load_dwordx2 v[5:6], v[1:2], off offset:128
	global_load_dwordx2 v[12:13], v[1:2], off offset:256
	;; [unrolled: 1-line block ×12, first 2 shown]
	s_waitcnt vmcnt(11)
	ds_write2_b64 v7, v[3:4], v[5:6] offset1:16
	s_waitcnt vmcnt(9)
	ds_write2_b64 v7, v[12:13], v[14:15] offset0:32 offset1:48
	s_waitcnt vmcnt(7)
	ds_write2_b64 v7, v[16:17], v[18:19] offset0:64 offset1:80
	;; [unrolled: 2-line block ×5, first 2 shown]
	s_waitcnt vmcnt(0)
	ds_write_b64 v7, v[1:2] offset:1536
.LBB0_11:
	s_or_b32 exec_lo, exec_lo, s1
	v_add_nc_u32_e32 v37, 0, v0
	v_add3_u32 v38, 0, v9, v0
	s_waitcnt lgkmcnt(0)
	s_barrier
	buffer_gl0_inv
	v_add_nc_u32_e32 v36, v37, v9
	ds_read2_b64 v[12:15], v38 offset0:16 offset1:32
	ds_read2_b64 v[16:19], v38 offset0:176 offset1:192
	v_cmp_gt_u32_e64 s0, 13, v8
	ds_read_b64 v[28:29], v36
	ds_read2_b64 v[20:23], v38 offset0:48 offset1:64
	ds_read2_b64 v[0:3], v38 offset0:80 offset1:96
	;; [unrolled: 1-line block ×4, first 2 shown]
	s_waitcnt lgkmcnt(0)
	s_barrier
	buffer_gl0_inv
	v_add_f32_e32 v30, v18, v12
	v_sub_f32_e32 v32, v12, v18
	v_add_f32_e32 v12, v28, v12
	v_add_f32_e32 v31, v19, v13
	v_sub_f32_e32 v33, v13, v19
	v_add_f32_e32 v13, v29, v13
	v_add_f32_e32 v35, v17, v15
	v_add_f32_e32 v12, v12, v14
	v_mul_f32_e32 v40, 0xbeedf032, v32
	v_mul_f32_e32 v47, 0xbf29c268, v33
	v_add_f32_e32 v13, v13, v15
	v_mul_f32_e32 v39, 0xbeedf032, v33
	v_add_f32_e32 v12, v12, v20
	v_mul_f32_e32 v41, 0xbf52af12, v33
	v_mul_f32_e32 v42, 0xbf52af12, v32
	v_add_f32_e32 v13, v13, v21
	v_mul_f32_e32 v43, 0xbf7e222b, v33
	v_add_f32_e32 v12, v12, v22
	;; [unrolled: 5-line block ×3, first 2 shown]
	v_mul_f32_e32 v48, 0xbf29c268, v32
	v_fma_f32 v57, 0xbf3f9e67, v30, -v47
	v_add_f32_e32 v13, v13, v1
	v_sub_f32_e32 v15, v15, v17
	v_add_f32_e32 v12, v12, v2
	v_mul_f32_e32 v32, 0xbe750f2a, v32
	v_add_f32_e32 v34, v16, v14
	v_add_f32_e32 v13, v13, v3
	v_fma_f32 v49, 0x3f62ad3f, v30, -v39
	v_add_f32_e32 v12, v12, v4
	v_fmac_f32_e32 v39, 0x3f62ad3f, v30
	v_fma_f32 v51, 0x3f116cb1, v30, -v41
	v_add_f32_e32 v13, v13, v5
	v_fmac_f32_e32 v41, 0x3f116cb1, v30
	v_add_f32_e32 v12, v12, v6
	v_fma_f32 v53, 0x3df6dbef, v30, -v43
	v_fmac_f32_e32 v43, 0x3df6dbef, v30
	v_add_f32_e32 v13, v13, v7
	v_fma_f32 v55, 0xbeb58ec6, v30, -v45
	v_add_f32_e32 v12, v12, v24
	v_fmac_f32_e32 v45, 0xbeb58ec6, v30
	v_sub_f32_e32 v14, v14, v16
	v_add_f32_e32 v13, v13, v25
	v_fmac_f32_e32 v47, 0xbf3f9e67, v30
	v_add_f32_e32 v12, v12, v26
	v_fmamk_f32 v50, v31, 0x3f62ad3f, v40
	v_fma_f32 v40, 0x3f62ad3f, v31, -v40
	v_add_f32_e32 v13, v13, v27
	v_fmamk_f32 v52, v31, 0x3f116cb1, v42
	v_add_f32_e32 v12, v12, v16
	v_fmamk_f32 v16, v31, 0xbf3f9e67, v48
	v_fma_f32 v42, 0x3f116cb1, v31, -v42
	v_add_f32_e32 v13, v13, v17
	v_add_f32_e32 v17, v28, v57
	;; [unrolled: 1-line block ×3, first 2 shown]
	v_mul_f32_e32 v18, 0xbe750f2a, v33
	v_fmamk_f32 v57, v31, 0xbf788fa5, v32
	v_add_f32_e32 v13, v13, v19
	v_fma_f32 v19, 0xbf3f9e67, v31, -v48
	v_mul_f32_e32 v48, 0xbf52af12, v15
	v_fma_f32 v33, 0xbf788fa5, v30, -v18
	v_fmac_f32_e32 v18, 0xbf788fa5, v30
	v_fma_f32 v30, 0xbf788fa5, v31, -v32
	v_fmamk_f32 v54, v31, 0x3df6dbef, v44
	v_fma_f32 v44, 0x3df6dbef, v31, -v44
	v_fmamk_f32 v56, v31, 0xbeb58ec6, v46
	v_fma_f32 v46, 0xbeb58ec6, v31, -v46
	v_add_f32_e32 v49, v28, v49
	v_add_f32_e32 v39, v28, v39
	;; [unrolled: 1-line block ×10, first 2 shown]
	v_fma_f32 v31, 0x3f116cb1, v34, -v48
	v_add_f32_e32 v32, v29, v57
	v_mul_f32_e32 v57, 0xbf52af12, v14
	v_add_f32_e32 v18, v28, v18
	v_add_f32_e32 v28, v29, v30
	v_mul_f32_e32 v30, 0xbf6f5d39, v15
	v_add_f32_e32 v50, v29, v50
	v_add_f32_e32 v40, v29, v40
	;; [unrolled: 1-line block ×11, first 2 shown]
	v_fmamk_f32 v31, v35, 0x3f116cb1, v57
	v_fmac_f32_e32 v48, 0x3f116cb1, v34
	v_fma_f32 v49, 0x3f116cb1, v35, -v57
	v_mul_f32_e32 v57, 0xbf6f5d39, v14
	v_fma_f32 v58, 0xbeb58ec6, v34, -v30
	v_add_f32_e32 v31, v31, v50
	v_add_f32_e32 v39, v48, v39
	;; [unrolled: 1-line block ×3, first 2 shown]
	v_fmamk_f32 v48, v35, 0xbeb58ec6, v57
	v_add_f32_e32 v49, v58, v51
	v_mul_f32_e32 v50, 0xbe750f2a, v15
	v_fmac_f32_e32 v30, 0xbeb58ec6, v34
	v_fma_f32 v51, 0xbeb58ec6, v35, -v57
	v_add_f32_e32 v48, v48, v52
	v_mul_f32_e32 v52, 0xbe750f2a, v14
	v_fma_f32 v57, 0xbf788fa5, v34, -v50
	v_add_f32_e32 v30, v30, v41
	v_add_f32_e32 v41, v51, v42
	v_mul_f32_e32 v42, 0x3f29c268, v15
	v_fmamk_f32 v51, v35, 0xbf788fa5, v52
	v_add_f32_e32 v53, v57, v53
	v_fmac_f32_e32 v50, 0xbf788fa5, v34
	v_fma_f32 v52, 0xbf788fa5, v35, -v52
	v_fma_f32 v57, 0xbf3f9e67, v34, -v42
	v_add_f32_e32 v51, v51, v54
	v_mul_f32_e32 v54, 0x3f29c268, v14
	v_add_f32_e32 v43, v50, v43
	v_add_f32_e32 v44, v52, v44
	;; [unrolled: 1-line block ×3, first 2 shown]
	v_mul_f32_e32 v52, 0x3f7e222b, v15
	v_fmac_f32_e32 v42, 0xbf3f9e67, v34
	v_mul_f32_e32 v57, 0x3f7e222b, v14
	v_fmamk_f32 v55, v35, 0xbf3f9e67, v54
	v_fma_f32 v54, 0xbf3f9e67, v35, -v54
	v_fma_f32 v58, 0x3df6dbef, v34, -v52
	v_add_f32_e32 v42, v42, v45
	v_fmamk_f32 v45, v35, 0x3df6dbef, v57
	v_mul_f32_e32 v15, 0x3eedf032, v15
	v_fmac_f32_e32 v52, 0x3df6dbef, v34
	v_add_f32_e32 v46, v54, v46
	v_mul_f32_e32 v14, 0x3eedf032, v14
	v_add_f32_e32 v16, v45, v16
	v_fma_f32 v45, 0x3df6dbef, v35, -v57
	v_fma_f32 v54, 0x3f62ad3f, v34, -v15
	v_add_f32_e32 v47, v52, v47
	v_sub_f32_e32 v52, v21, v27
	v_add_f32_e32 v55, v55, v56
	v_add_f32_e32 v19, v45, v19
	v_add_f32_e32 v33, v54, v33
	v_add_f32_e32 v45, v26, v20
	v_mul_f32_e32 v54, 0xbf7e222b, v52
	v_sub_f32_e32 v20, v20, v26
	v_fmamk_f32 v56, v35, 0x3f62ad3f, v14
	v_fmac_f32_e32 v15, 0x3f62ad3f, v34
	v_fma_f32 v14, 0x3f62ad3f, v35, -v14
	v_fma_f32 v26, 0x3df6dbef, v45, -v54
	v_add_f32_e32 v21, v27, v21
	v_mul_f32_e32 v27, 0xbf7e222b, v20
	v_add_f32_e32 v15, v15, v18
	v_add_f32_e32 v14, v14, v28
	;; [unrolled: 1-line block ×3, first 2 shown]
	v_mul_f32_e32 v26, 0xbe750f2a, v52
	v_fmamk_f32 v28, v21, 0x3df6dbef, v27
	v_fma_f32 v27, 0x3df6dbef, v21, -v27
	v_mul_f32_e32 v29, 0xbe750f2a, v20
	v_fmac_f32_e32 v54, 0x3df6dbef, v45
	v_fma_f32 v34, 0xbf788fa5, v45, -v26
	v_fmac_f32_e32 v26, 0xbf788fa5, v45
	v_add_f32_e32 v27, v27, v40
	v_fmamk_f32 v35, v21, 0xbf788fa5, v29
	v_fma_f32 v29, 0xbf788fa5, v21, -v29
	v_mul_f32_e32 v40, 0x3f6f5d39, v20
	v_add_f32_e32 v28, v28, v31
	v_add_f32_e32 v31, v54, v39
	v_mul_f32_e32 v39, 0x3f6f5d39, v52
	v_add_f32_e32 v26, v26, v30
	v_add_f32_e32 v29, v29, v41
	v_mul_f32_e32 v30, 0x3eedf032, v52
	v_fmamk_f32 v41, v21, 0xbeb58ec6, v40
	v_add_f32_e32 v34, v34, v49
	v_add_f32_e32 v35, v35, v48
	v_fma_f32 v48, 0xbeb58ec6, v45, -v39
	v_fmac_f32_e32 v39, 0xbeb58ec6, v45
	v_fma_f32 v40, 0xbeb58ec6, v21, -v40
	v_fma_f32 v49, 0x3f62ad3f, v45, -v30
	v_add_f32_e32 v41, v41, v51
	v_mul_f32_e32 v51, 0x3eedf032, v20
	v_add_f32_e32 v39, v39, v43
	v_add_f32_e32 v40, v40, v44
	;; [unrolled: 1-line block ×3, first 2 shown]
	v_mul_f32_e32 v44, 0xbf52af12, v52
	v_fmamk_f32 v49, v21, 0x3f62ad3f, v51
	v_fmac_f32_e32 v30, 0x3f62ad3f, v45
	v_mul_f32_e32 v50, 0xbf52af12, v20
	v_fma_f32 v51, 0x3f62ad3f, v21, -v51
	v_add_f32_e32 v48, v48, v53
	v_fma_f32 v53, 0x3f116cb1, v45, -v44
	v_add_f32_e32 v30, v30, v42
	v_fmamk_f32 v42, v21, 0x3f116cb1, v50
	v_add_f32_e32 v46, v51, v46
	v_mul_f32_e32 v51, 0xbf29c268, v52
	v_fmac_f32_e32 v44, 0x3f116cb1, v45
	v_mul_f32_e32 v20, 0xbf29c268, v20
	v_add_f32_e32 v16, v42, v16
	v_fma_f32 v42, 0x3f116cb1, v21, -v50
	v_fma_f32 v50, 0xbf3f9e67, v45, -v51
	v_add_f32_e32 v44, v44, v47
	v_sub_f32_e32 v47, v23, v25
	v_fmamk_f32 v52, v21, 0xbf3f9e67, v20
	v_add_f32_e32 v19, v42, v19
	v_add_f32_e32 v33, v50, v33
	;; [unrolled: 1-line block ×3, first 2 shown]
	v_mul_f32_e32 v50, 0xbf6f5d39, v47
	v_sub_f32_e32 v22, v22, v24
	v_fma_f32 v20, 0xbf3f9e67, v21, -v20
	v_add_f32_e32 v23, v25, v23
	v_fmac_f32_e32 v51, 0xbf3f9e67, v45
	v_fma_f32 v21, 0xbeb58ec6, v42, -v50
	v_mul_f32_e32 v24, 0xbf6f5d39, v22
	v_add_f32_e32 v14, v20, v14
	v_mul_f32_e32 v20, 0x3f29c268, v47
	v_mul_f32_e32 v25, 0x3f29c268, v22
	v_add_f32_e32 v18, v21, v18
	v_fmamk_f32 v21, v23, 0xbeb58ec6, v24
	v_fma_f32 v24, 0xbeb58ec6, v23, -v24
	v_fmac_f32_e32 v50, 0xbeb58ec6, v42
	v_fma_f32 v45, 0xbf3f9e67, v42, -v20
	v_fmac_f32_e32 v20, 0xbf3f9e67, v42
	v_add_f32_e32 v21, v21, v28
	v_add_f32_e32 v24, v24, v27
	v_fmamk_f32 v27, v23, 0xbf3f9e67, v25
	v_add_f32_e32 v28, v50, v31
	v_add_f32_e32 v31, v45, v34
	v_mul_f32_e32 v34, 0x3eedf032, v47
	v_fma_f32 v25, 0xbf3f9e67, v23, -v25
	v_add_f32_e32 v27, v27, v35
	v_mul_f32_e32 v35, 0x3eedf032, v22
	v_add_f32_e32 v20, v20, v26
	v_fma_f32 v45, 0x3f62ad3f, v42, -v34
	v_add_f32_e32 v25, v25, v29
	v_mul_f32_e32 v26, 0xbf7e222b, v47
	v_fmamk_f32 v29, v23, 0x3f62ad3f, v35
	v_fmac_f32_e32 v34, 0x3f62ad3f, v42
	v_add_f32_e32 v45, v45, v48
	v_fma_f32 v35, 0x3f62ad3f, v23, -v35
	v_fma_f32 v48, 0x3df6dbef, v42, -v26
	v_add_f32_e32 v29, v29, v41
	v_mul_f32_e32 v41, 0xbf7e222b, v22
	v_add_f32_e32 v34, v34, v39
	v_add_f32_e32 v35, v35, v40
	;; [unrolled: 1-line block ×3, first 2 shown]
	v_mul_f32_e32 v40, 0x3e750f2a, v47
	v_fmamk_f32 v43, v23, 0x3df6dbef, v41
	v_fmac_f32_e32 v26, 0x3df6dbef, v42
	v_mul_f32_e32 v48, 0x3e750f2a, v22
	v_fma_f32 v41, 0x3df6dbef, v23, -v41
	v_fma_f32 v50, 0xbf788fa5, v42, -v40
	v_fmac_f32_e32 v40, 0xbf788fa5, v42
	v_add_f32_e32 v26, v26, v30
	v_fmamk_f32 v30, v23, 0xbf788fa5, v48
	v_add_f32_e32 v41, v41, v46
	v_mul_f32_e32 v46, 0x3f52af12, v47
	v_add_f32_e32 v40, v40, v44
	v_sub_f32_e32 v44, v1, v7
	v_add_f32_e32 v16, v30, v16
	v_fma_f32 v30, 0xbf788fa5, v23, -v48
	v_fma_f32 v47, 0x3f116cb1, v42, -v46
	v_mul_f32_e32 v22, 0x3f52af12, v22
	v_add_f32_e32 v1, v7, v1
	v_fmac_f32_e32 v46, 0x3f116cb1, v42
	v_add_f32_e32 v19, v30, v19
	v_add_f32_e32 v30, v47, v33
	;; [unrolled: 1-line block ×3, first 2 shown]
	v_mul_f32_e32 v47, 0xbf29c268, v44
	v_fmamk_f32 v48, v23, 0x3f116cb1, v22
	v_sub_f32_e32 v0, v0, v6
	v_fma_f32 v6, 0x3f116cb1, v23, -v22
	v_add_f32_e32 v17, v58, v17
	v_fma_f32 v22, 0xbf3f9e67, v33, -v47
	v_fmac_f32_e32 v47, 0xbf3f9e67, v33
	v_mul_f32_e32 v7, 0xbf29c268, v0
	v_add_f32_e32 v6, v6, v14
	v_mul_f32_e32 v23, 0x3f7e222b, v0
	v_add_f32_e32 v14, v22, v18
	v_mul_f32_e32 v18, 0x3f7e222b, v44
	v_fmamk_f32 v22, v1, 0xbf3f9e67, v7
	v_fma_f32 v7, 0xbf3f9e67, v1, -v7
	v_add_f32_e32 v32, v56, v32
	v_add_f32_e32 v49, v49, v55
	v_fma_f32 v42, 0x3df6dbef, v33, -v18
	v_add_f32_e32 v21, v22, v21
	v_add_f32_e32 v22, v47, v28
	;; [unrolled: 1-line block ×3, first 2 shown]
	v_fmamk_f32 v24, v1, 0x3df6dbef, v23
	v_add_f32_e32 v28, v42, v31
	v_mul_f32_e32 v31, 0xbf52af12, v44
	v_fmac_f32_e32 v18, 0x3df6dbef, v33
	v_fma_f32 v23, 0x3df6dbef, v1, -v23
	v_add_f32_e32 v27, v24, v27
	v_mul_f32_e32 v24, 0xbf52af12, v0
	v_fma_f32 v42, 0x3f116cb1, v33, -v31
	v_add_f32_e32 v20, v18, v20
	v_mul_f32_e32 v18, 0x3e750f2a, v44
	v_add_f32_e32 v23, v23, v25
	v_fmamk_f32 v25, v1, 0x3f116cb1, v24
	v_add_f32_e32 v42, v42, v45
	v_fmac_f32_e32 v31, 0x3f116cb1, v33
	v_fma_f32 v24, 0x3f116cb1, v1, -v24
	v_fma_f32 v45, 0xbf788fa5, v33, -v18
	v_add_f32_e32 v17, v53, v17
	v_add_f32_e32 v32, v52, v32
	;; [unrolled: 1-line block ×4, first 2 shown]
	v_mul_f32_e32 v25, 0x3e750f2a, v0
	v_add_f32_e32 v31, v31, v34
	v_add_f32_e32 v34, v24, v35
	;; [unrolled: 1-line block ×3, first 2 shown]
	v_mul_f32_e32 v24, 0x3eedf032, v44
	v_fmac_f32_e32 v18, 0xbf788fa5, v33
	v_mul_f32_e32 v45, 0x3eedf032, v0
	v_add_f32_e32 v43, v43, v49
	v_add_f32_e32 v17, v50, v17
	;; [unrolled: 1-line block ×4, first 2 shown]
	v_fmamk_f32 v39, v1, 0xbf788fa5, v25
	v_fma_f32 v46, 0x3f62ad3f, v33, -v24
	v_add_f32_e32 v26, v18, v26
	v_fmamk_f32 v18, v1, 0x3f62ad3f, v45
	v_fmac_f32_e32 v24, 0x3f62ad3f, v33
	v_mul_f32_e32 v0, 0xbf6f5d39, v0
	v_add_f32_e32 v48, v4, v2
	v_sub_f32_e32 v4, v2, v4
	v_add_f32_e32 v39, v39, v43
	v_add_f32_e32 v43, v46, v17
	v_mul_f32_e32 v17, 0xbf6f5d39, v44
	v_add_f32_e32 v44, v18, v16
	v_fma_f32 v16, 0x3f62ad3f, v1, -v45
	v_add_f32_e32 v40, v24, v40
	v_sub_f32_e32 v45, v3, v5
	v_fmamk_f32 v24, v1, 0xbeb58ec6, v0
	v_fma_f32 v0, 0xbeb58ec6, v1, -v0
	v_add_f32_e32 v5, v5, v3
	v_mul_f32_e32 v2, 0xbe750f2a, v4
	v_fma_f32 v18, 0xbeb58ec6, v33, -v17
	v_add_f32_e32 v46, v16, v19
	v_mul_f32_e32 v16, 0xbe750f2a, v45
	v_fmac_f32_e32 v17, 0xbeb58ec6, v33
	v_add_f32_e32 v6, v0, v6
	v_mul_f32_e32 v0, 0x3eedf032, v45
	v_fma_f32 v3, 0xbf788fa5, v5, -v2
	v_fma_f32 v25, 0xbf788fa5, v1, -v25
	;; [unrolled: 1-line block ×3, first 2 shown]
	v_add_f32_e32 v50, v17, v15
	v_fmac_f32_e32 v16, 0xbf788fa5, v48
	v_fma_f32 v15, 0x3f62ad3f, v48, -v0
	v_add_f32_e32 v3, v3, v7
	v_mul_f32_e32 v7, 0xbf29c268, v45
	v_add_f32_e32 v47, v18, v30
	v_add_f32_e32 v49, v24, v32
	;; [unrolled: 1-line block ×3, first 2 shown]
	v_fmamk_f32 v1, v5, 0xbf788fa5, v2
	v_mul_f32_e32 v14, 0x3eedf032, v4
	v_add_f32_e32 v2, v16, v22
	v_add_f32_e32 v24, v15, v28
	v_fmac_f32_e32 v0, 0x3f62ad3f, v48
	v_mul_f32_e32 v15, 0xbf29c268, v4
	v_fma_f32 v16, 0xbf3f9e67, v48, -v7
	v_fmac_f32_e32 v7, 0xbf3f9e67, v48
	v_add_f32_e32 v19, v1, v21
	v_fmamk_f32 v1, v5, 0x3f62ad3f, v14
	v_fma_f32 v14, 0x3f62ad3f, v5, -v14
	v_add_f32_e32 v0, v0, v20
	v_mul_f32_e32 v20, 0x3f52af12, v45
	v_fmamk_f32 v17, v5, 0xbf3f9e67, v15
	v_add_f32_e32 v22, v7, v31
	v_mul_f32_e32 v7, 0xbf6f5d39, v45
	v_add_f32_e32 v41, v25, v41
	v_add_f32_e32 v25, v1, v27
	;; [unrolled: 1-line block ×4, first 2 shown]
	v_fma_f32 v16, 0xbf3f9e67, v5, -v15
	v_fma_f32 v21, 0x3f116cb1, v48, -v20
	v_add_f32_e32 v15, v17, v29
	v_mul_f32_e32 v17, 0x3f52af12, v4
	v_fmac_f32_e32 v20, 0x3f116cb1, v48
	v_mul_f32_e32 v28, 0xbf6f5d39, v4
	v_fma_f32 v29, 0xbeb58ec6, v48, -v7
	v_add_f32_e32 v23, v16, v34
	v_add_f32_e32 v16, v21, v35
	v_fmamk_f32 v21, v5, 0x3f116cb1, v17
	v_add_f32_e32 v26, v20, v26
	v_fmamk_f32 v20, v5, 0xbeb58ec6, v28
	v_add_f32_e32 v30, v29, v43
	v_fmac_f32_e32 v7, 0xbeb58ec6, v48
	v_mul_f32_e32 v29, 0x3f7e222b, v45
	v_mul_f32_e32 v4, 0x3f7e222b, v4
	v_fma_f32 v27, 0x3f116cb1, v5, -v17
	v_add_f32_e32 v17, v21, v39
	v_add_f32_e32 v31, v20, v44
	v_fma_f32 v21, 0xbeb58ec6, v5, -v28
	v_add_f32_e32 v20, v7, v40
	v_fma_f32 v7, 0x3df6dbef, v48, -v29
	v_fmamk_f32 v28, v5, 0x3df6dbef, v4
	v_fmac_f32_e32 v29, 0x3df6dbef, v48
	v_fma_f32 v4, 0x3df6dbef, v5, -v4
	v_add_f32_e32 v27, v27, v41
	v_add_f32_e32 v21, v21, v46
	;; [unrolled: 1-line block ×5, first 2 shown]
	v_mad_u32_u24 v5, 0x68, v8, v37
	v_add_f32_e32 v29, v4, v6
	ds_write2_b64 v5, v[12:13], v[18:19] offset1:1
	ds_write2_b64 v5, v[24:25], v[14:15] offset0:2 offset1:3
	ds_write2_b64 v5, v[16:17], v[30:31] offset0:4 offset1:5
	;; [unrolled: 1-line block ×5, first 2 shown]
	ds_write_b64 v5, v[2:3] offset:96
	s_waitcnt lgkmcnt(0)
	s_barrier
	buffer_gl0_inv
                                        ; implicit-def: $vgpr5
                                        ; implicit-def: $vgpr35
	s_and_saveexec_b32 s1, s0
	s_cbranch_execz .LBB0_13
; %bb.12:
	ds_read2_b64 v[14:17], v38 offset0:91 offset1:104
	ds_read2_b64 v[22:25], v38 offset0:117 offset1:130
	ds_read2_b64 v[0:3], v38 offset0:143 offset1:156
	ds_read2_b64 v[30:33], v38 offset0:65 offset1:78
	ds_read2_b64 v[39:42], v38 offset0:39 offset1:52
	ds_read2_b64 v[43:46], v38 offset0:13 offset1:26
	ds_read2_b64 v[4:7], v38 offset0:169 offset1:182
	ds_read_b64 v[12:13], v36
	ds_read_b64 v[34:35], v38 offset:1560
	s_waitcnt lgkmcnt(8)
	v_mov_b32_e32 v21, v17
	v_mov_b32_e32 v20, v16
	s_waitcnt lgkmcnt(7)
	v_mov_b32_e32 v27, v23
	v_mov_b32_e32 v26, v22
	;; [unrolled: 1-line block ×6, first 2 shown]
	s_waitcnt lgkmcnt(4)
	v_mov_b32_e32 v17, v42
	v_mov_b32_e32 v16, v41
	;; [unrolled: 1-line block ×4, first 2 shown]
	s_waitcnt lgkmcnt(3)
	v_mov_b32_e32 v25, v46
	v_mov_b32_e32 v24, v45
	;; [unrolled: 1-line block ×4, first 2 shown]
.LBB0_13:
	s_or_b32 exec_lo, exec_lo, s1
	s_waitcnt lgkmcnt(0)
	s_barrier
	buffer_gl0_inv
	s_and_saveexec_b32 s1, s0
	s_cbranch_execz .LBB0_15
; %bb.14:
	v_add_nc_u32_e32 v39, -13, v8
	v_mov_b32_e32 v40, 0
	v_cndmask_b32_e64 v39, v39, v8, s0
	v_mul_i32_i24_e32 v39, 15, v39
	v_lshlrev_b64 v[39:40], 3, v[39:40]
	v_add_co_u32 v51, s0, s8, v39
	v_add_co_ci_u32_e64 v52, s0, s9, v40, s0
	s_clause 0x3
	global_load_dwordx4 v[39:42], v[51:52], off offset:96
	global_load_dwordx4 v[43:46], v[51:52], off offset:32
	global_load_dwordx4 v[47:50], v[51:52], off
	global_load_dwordx2 v[53:54], v[51:52], off offset:112
	s_waitcnt vmcnt(3)
	v_mul_f32_e32 v55, v6, v42
	s_waitcnt vmcnt(2)
	v_mul_f32_e32 v59, v32, v46
	v_mul_f32_e32 v46, v33, v46
	v_mul_f32_e32 v42, v7, v42
	v_mul_f32_e32 v56, v4, v40
	v_mul_f32_e32 v40, v5, v40
	v_fmac_f32_e32 v59, v33, v45
	v_fma_f32 v60, v32, v45, -v46
	s_waitcnt vmcnt(1)
	v_mul_f32_e32 v32, v25, v50
	v_mul_f32_e32 v50, v24, v50
	v_fmac_f32_e32 v55, v7, v41
	v_fma_f32 v57, v6, v41, -v42
	v_fmac_f32_e32 v56, v5, v39
	v_fma_f32 v24, v24, v49, -v32
	v_fmac_f32_e32 v50, v25, v49
	v_mul_f32_e32 v25, v30, v44
	v_mul_f32_e32 v32, v31, v44
	v_fma_f32 v58, v4, v39, -v40
	s_clause 0x1
	global_load_dwordx4 v[4:7], v[51:52], off offset:48
	global_load_dwordx4 v[39:42], v[51:52], off offset:16
	v_fmac_f32_e32 v25, v31, v43
	v_fma_f32 v49, v30, v43, -v32
	global_load_dwordx4 v[30:33], v[51:52], off offset:64
	v_mul_f32_e32 v43, v19, v48
	v_mul_f32_e32 v48, v18, v48
	v_fma_f32 v18, v18, v47, -v43
	global_load_dwordx4 v[43:46], v[51:52], off offset:80
	v_fmac_f32_e32 v48, v19, v47
	s_waitcnt vmcnt(3)
	v_mul_f32_e32 v52, v28, v5
	v_mul_f32_e32 v5, v29, v5
	s_waitcnt vmcnt(1)
	v_mul_f32_e32 v19, v23, v33
	v_mul_f32_e32 v33, v22, v33
	;; [unrolled: 1-line block ×4, first 2 shown]
	v_fmac_f32_e32 v52, v29, v4
	v_fma_f32 v19, v22, v32, -v19
	v_fmac_f32_e32 v33, v23, v32
	v_fma_f32 v26, v26, v30, -v47
	v_fmac_f32_e32 v31, v27, v30
	v_mul_f32_e32 v30, v34, v54
	v_mul_f32_e32 v32, v35, v54
	;; [unrolled: 1-line block ×3, first 2 shown]
	s_waitcnt vmcnt(0)
	v_mul_f32_e32 v23, v3, v46
	v_mul_f32_e32 v27, v20, v7
	;; [unrolled: 1-line block ×4, first 2 shown]
	v_fmac_f32_e32 v30, v35, v53
	v_fma_f32 v32, v34, v53, -v32
	v_mul_f32_e32 v34, v14, v40
	v_mul_f32_e32 v35, v0, v44
	;; [unrolled: 1-line block ×3, first 2 shown]
	v_fma_f32 v4, v28, v4, -v5
	v_mul_f32_e32 v5, v16, v42
	v_mul_f32_e32 v28, v2, v46
	v_fma_f32 v16, v16, v41, -v22
	v_fma_f32 v2, v2, v45, -v23
	v_fmac_f32_e32 v27, v21, v6
	v_fma_f32 v14, v14, v39, -v47
	v_fma_f32 v0, v0, v43, -v51
	v_fmac_f32_e32 v34, v15, v39
	v_fmac_f32_e32 v35, v1, v43
	v_fma_f32 v1, v20, v6, -v7
	v_fmac_f32_e32 v5, v17, v41
	v_fmac_f32_e32 v28, v3, v45
	v_sub_f32_e32 v3, v24, v19
	v_sub_f32_e32 v6, v59, v55
	;; [unrolled: 1-line block ×17, first 2 shown]
	v_add_f32_e32 v30, v15, v7
	v_add_f32_e32 v31, v17, v2
	v_sub_f32_e32 v32, v0, v19
	v_sub_f32_e32 v33, v20, v21
	v_add_f32_e32 v35, v23, v22
	v_add_f32_e32 v39, v27, v26
	v_sub_f32_e32 v40, v1, v28
	v_fma_f32 v13, v13, 2.0, -v17
	v_fma_f32 v5, v5, 2.0, -v28
	v_fma_f32 v18, v18, 2.0, -v20
	v_fma_f32 v26, v49, 2.0, -v26
	v_fma_f32 v28, v34, 2.0, -v23
	v_fma_f32 v19, v52, 2.0, -v19
	v_fma_f32 v14, v14, 2.0, -v0
	v_fma_f32 v4, v4, 2.0, -v22
	v_fma_f32 v22, v48, 2.0, -v27
	v_fma_f32 v21, v25, 2.0, -v21
	v_fma_f32 v12, v12, 2.0, -v1
	v_fma_f32 v2, v16, 2.0, -v2
	v_fma_f32 v16, v50, 2.0, -v15
	v_fma_f32 v6, v59, 2.0, -v6
	v_fma_f32 v24, v24, 2.0, -v3
	v_fma_f32 v7, v60, 2.0, -v7
	v_fmamk_f32 v25, v30, 0x3f3504f3, v31
	v_fmamk_f32 v34, v32, 0x3f3504f3, v33
	;; [unrolled: 1-line block ×4, first 2 shown]
	v_sub_f32_e32 v5, v13, v5
	v_sub_f32_e32 v26, v18, v26
	;; [unrolled: 1-line block ×7, first 2 shown]
	v_fma_f32 v6, v3, 2.0, -v29
	v_fma_f32 v17, v17, 2.0, -v31
	;; [unrolled: 1-line block ×8, first 2 shown]
	v_sub_f32_e32 v7, v24, v7
	v_fmac_f32_e32 v25, 0x3f3504f3, v29
	v_fmac_f32_e32 v34, 0xbf3504f3, v35
	;; [unrolled: 1-line block ×4, first 2 shown]
	v_sub_f32_e32 v30, v26, v19
	v_add_f32_e32 v32, v21, v4
	v_sub_f32_e32 v35, v43, v2
	v_fmamk_f32 v46, v15, 0xbf3504f3, v17
	v_fmamk_f32 v47, v44, 0xbf3504f3, v20
	;; [unrolled: 1-line block ×4, first 2 shown]
	v_fma_f32 v50, v13, 2.0, -v5
	v_fma_f32 v13, v16, 2.0, -v2
	;; [unrolled: 1-line block ×4, first 2 shown]
	v_add_f32_e32 v29, v5, v7
	v_fma_f32 v18, v12, 2.0, -v43
	v_fma_f32 v7, v24, 2.0, -v7
	;; [unrolled: 1-line block ×4, first 2 shown]
	v_fmamk_f32 v1, v41, 0x3f6c835e, v25
	v_fmamk_f32 v0, v34, 0x3f6c835e, v42
	;; [unrolled: 1-line block ×3, first 2 shown]
	v_fmac_f32_e32 v46, 0x3f3504f3, v6
	v_fmac_f32_e32 v47, 0xbf3504f3, v23
	;; [unrolled: 1-line block ×4, first 2 shown]
	v_sub_f32_e32 v23, v50, v13
	v_sub_f32_e32 v19, v16, v4
	;; [unrolled: 1-line block ×4, first 2 shown]
	v_fma_f32 v31, v31, 2.0, -v25
	v_fma_f32 v33, v33, 2.0, -v34
	;; [unrolled: 1-line block ×4, first 2 shown]
	v_fmamk_f32 v3, v32, 0x3f3504f3, v29
	v_fma_f32 v44, v5, 2.0, -v29
	v_fma_f32 v26, v26, 2.0, -v30
	;; [unrolled: 1-line block ×4, first 2 shown]
	v_fmac_f32_e32 v1, 0x3ec3ef15, v34
	v_fmac_f32_e32 v0, 0xbec3ef15, v41
	v_fmac_f32_e32 v2, 0xbf3504f3, v32
	v_add_f32_e32 v7, v23, v19
	v_fma_f32 v34, v17, 2.0, -v46
	v_fma_f32 v32, v20, 2.0, -v47
	v_fma_f32 v41, v27, 2.0, -v48
	v_fma_f32 v45, v45, 2.0, -v49
	v_sub_f32_e32 v6, v24, v28
	v_fma_f32 v50, v50, 2.0, -v23
	v_fma_f32 v27, v22, 2.0, -v28
	;; [unrolled: 1-line block ×4, first 2 shown]
	v_fmamk_f32 v13, v39, 0xbec3ef15, v31
	v_fmamk_f32 v12, v33, 0xbec3ef15, v40
	;; [unrolled: 1-line block ×6, first 2 shown]
	v_fma_f32 v21, v23, 2.0, -v7
	v_fmamk_f32 v23, v41, 0xbf6c835e, v34
	v_fmamk_f32 v22, v32, 0xbf6c835e, v45
	v_fma_f32 v17, v25, 2.0, -v1
	v_fma_f32 v20, v24, 2.0, -v6
	v_sub_f32_e32 v25, v50, v27
	v_sub_f32_e32 v24, v52, v28
	v_fmac_f32_e32 v3, 0x3f3504f3, v30
	v_fmac_f32_e32 v13, 0x3f6c835e, v33
	;; [unrolled: 1-line block ×5, first 2 shown]
	v_fma_f32 v16, v42, 2.0, -v0
	v_fmac_f32_e32 v15, 0x3f3504f3, v26
	v_fmac_f32_e32 v14, 0xbf3504f3, v51
	;; [unrolled: 1-line block ×4, first 2 shown]
	v_fma_f32 v33, v50, 2.0, -v25
	v_fma_f32 v32, v52, 2.0, -v24
	;; [unrolled: 1-line block ×10, first 2 shown]
	ds_write2_b64 v38, v[16:17], v[24:25] offset0:91 offset1:104
	ds_write2_b64 v38, v[12:13], v[6:7] offset0:143 offset1:156
	;; [unrolled: 1-line block ×3, first 2 shown]
	v_fma_f32 v3, v34, 2.0, -v23
	v_fma_f32 v2, v45, 2.0, -v22
	ds_write_b64 v36, v[32:33]
	ds_write2_b64 v38, v[28:29], v[20:21] offset0:39 offset1:52
	ds_write2_b64 v38, v[26:27], v[18:19] offset0:65 offset1:78
	;; [unrolled: 1-line block ×4, first 2 shown]
	ds_write_b64 v38, v[0:1] offset:1560
.LBB0_15:
	s_or_b32 exec_lo, exec_lo, s1
	s_waitcnt lgkmcnt(0)
	s_barrier
	buffer_gl0_inv
	ds_read_b64 v[0:1], v36
	v_sub_nc_u32_e32 v6, v37, v9
	v_cmp_ne_u32_e64 s0, 0, v8
                                        ; implicit-def: $vgpr5
                                        ; implicit-def: $vgpr7
                                        ; implicit-def: $vgpr2_vgpr3
	s_and_saveexec_b32 s1, s0
	s_xor_b32 s0, exec_lo, s1
	s_cbranch_execz .LBB0_17
; %bb.16:
	global_load_dwordx2 v[2:3], v9, s[8:9] offset:1560
	ds_read_b64 v[4:5], v6 offset:1664
                                        ; implicit-def: $vgpr37
	s_waitcnt lgkmcnt(0)
	v_sub_f32_e32 v7, v0, v4
	v_add_f32_e32 v9, v5, v1
	v_sub_f32_e32 v1, v1, v5
	v_add_f32_e32 v0, v4, v0
	v_mul_f32_e32 v5, 0.5, v7
	v_mul_f32_e32 v4, 0.5, v9
	;; [unrolled: 1-line block ×3, first 2 shown]
	v_mov_b32_e32 v9, 0
	s_waitcnt vmcnt(0)
	v_mul_f32_e32 v7, v3, v5
	v_fma_f32 v12, v4, v3, v1
	v_fma_f32 v1, v4, v3, -v1
	v_fma_f32 v13, 0.5, v0, v7
	v_fma_f32 v0, v0, 0.5, -v7
	v_fma_f32 v7, -v2, v5, v12
	v_fma_f32 v5, -v2, v5, v1
	v_fmac_f32_e32 v13, v2, v4
	v_fma_f32 v4, -v2, v4, v0
	v_mov_b32_e32 v2, v8
	v_mov_b32_e32 v3, v9
                                        ; implicit-def: $vgpr0_vgpr1
	ds_write_b32 v36, v13
.LBB0_17:
	s_andn2_saveexec_b32 s0, s0
	s_cbranch_execz .LBB0_19
; %bb.18:
	ds_read_b32 v2, v37 offset:836
	v_mov_b32_e32 v7, 0
	s_waitcnt lgkmcnt(1)
	v_add_f32_e32 v9, v0, v1
	v_sub_f32_e32 v4, v0, v1
	v_mov_b32_e32 v5, v7
	s_waitcnt lgkmcnt(0)
	v_xor_b32_e32 v0, 0x80000000, v2
	v_mov_b32_e32 v2, 0
	v_mov_b32_e32 v3, 0
	ds_write_b32 v36, v9
	ds_write_b32 v37, v0 offset:836
.LBB0_19:
	s_or_b32 exec_lo, exec_lo, s0
	s_waitcnt lgkmcnt(0)
	v_lshlrev_b64 v[0:1], 3, v[2:3]
	s_add_u32 s0, s8, 0x618
	s_addc_u32 s1, s9, 0
	v_add_co_u32 v2, s0, s0, v0
	v_add_co_ci_u32_e64 v3, s0, s1, v1, s0
	s_mov_b32 s1, exec_lo
	s_clause 0x4
	global_load_dwordx2 v[12:13], v[2:3], off offset:128
	global_load_dwordx2 v[14:15], v[2:3], off offset:256
	;; [unrolled: 1-line block ×5, first 2 shown]
	ds_write_b32 v36, v7 offset:4
	ds_write_b64 v6, v[4:5] offset:1664
	ds_read_b64 v[4:5], v36 offset:128
	ds_read_b64 v[22:23], v6 offset:1536
	s_waitcnt lgkmcnt(0)
	v_sub_f32_e32 v7, v4, v22
	v_add_f32_e32 v9, v5, v23
	v_sub_f32_e32 v5, v5, v23
	v_add_f32_e32 v22, v4, v22
	v_mul_f32_e32 v7, 0.5, v7
	v_mul_f32_e32 v9, 0.5, v9
	v_mul_f32_e32 v5, 0.5, v5
	s_waitcnt vmcnt(4)
	v_mul_f32_e32 v23, v13, v7
	v_fma_f32 v24, v9, v13, v5
	v_fma_f32 v13, v9, v13, -v5
	v_fma_f32 v4, 0.5, v22, v23
	v_fma_f32 v22, v22, 0.5, -v23
	v_fma_f32 v5, -v12, v7, v24
	v_fma_f32 v13, -v12, v7, v13
	v_fmac_f32_e32 v4, v12, v9
	v_fma_f32 v12, -v12, v9, v22
	ds_write_b64 v36, v[4:5] offset:128
	ds_write_b64 v6, v[12:13] offset:1536
	ds_read_b64 v[4:5], v36 offset:256
	ds_read_b64 v[12:13], v6 offset:1408
	s_waitcnt lgkmcnt(0)
	v_sub_f32_e32 v7, v4, v12
	v_add_f32_e32 v9, v5, v13
	v_sub_f32_e32 v5, v5, v13
	v_add_f32_e32 v12, v4, v12
	v_mul_f32_e32 v7, 0.5, v7
	v_mul_f32_e32 v9, 0.5, v9
	;; [unrolled: 1-line block ×3, first 2 shown]
	s_waitcnt vmcnt(3)
	v_mul_f32_e32 v13, v15, v7
	v_fma_f32 v22, v9, v15, v5
	v_fma_f32 v15, v9, v15, -v5
	v_fma_f32 v4, 0.5, v12, v13
	v_fma_f32 v12, v12, 0.5, -v13
	v_fma_f32 v5, -v14, v7, v22
	v_fma_f32 v13, -v14, v7, v15
	v_fmac_f32_e32 v4, v14, v9
	v_fma_f32 v12, -v14, v9, v12
	ds_write_b64 v36, v[4:5] offset:256
	ds_write_b64 v6, v[12:13] offset:1408
	ds_read_b64 v[4:5], v36 offset:384
	ds_read_b64 v[12:13], v6 offset:1280
	s_waitcnt lgkmcnt(0)
	v_sub_f32_e32 v7, v4, v12
	v_add_f32_e32 v9, v5, v13
	v_sub_f32_e32 v5, v5, v13
	v_add_f32_e32 v12, v4, v12
	v_mul_f32_e32 v7, 0.5, v7
	v_mul_f32_e32 v9, 0.5, v9
	;; [unrolled: 1-line block ×3, first 2 shown]
	s_waitcnt vmcnt(2)
	v_mul_f32_e32 v13, v17, v7
	v_fma_f32 v14, v9, v17, v5
	v_fma_f32 v15, v9, v17, -v5
	v_fma_f32 v4, 0.5, v12, v13
	v_fma_f32 v12, v12, 0.5, -v13
	v_fma_f32 v5, -v16, v7, v14
	v_fma_f32 v13, -v16, v7, v15
	v_fmac_f32_e32 v4, v16, v9
	v_fma_f32 v12, -v16, v9, v12
	v_or_b32_e32 v16, 0x60, v8
	ds_write_b64 v36, v[4:5] offset:384
	ds_write_b64 v6, v[12:13] offset:1280
	ds_read_b64 v[4:5], v36 offset:512
	ds_read_b64 v[12:13], v6 offset:1152
	s_waitcnt lgkmcnt(0)
	v_sub_f32_e32 v7, v4, v12
	v_add_f32_e32 v9, v5, v13
	v_sub_f32_e32 v5, v5, v13
	v_add_f32_e32 v12, v4, v12
	v_mul_f32_e32 v7, 0.5, v7
	v_mul_f32_e32 v9, 0.5, v9
	;; [unrolled: 1-line block ×3, first 2 shown]
	s_waitcnt vmcnt(1)
	v_mul_f32_e32 v13, v19, v7
	v_fma_f32 v14, v9, v19, v5
	v_fma_f32 v15, v9, v19, -v5
	v_fma_f32 v4, 0.5, v12, v13
	v_fma_f32 v12, v12, 0.5, -v13
	v_fma_f32 v5, -v18, v7, v14
	v_fma_f32 v13, -v18, v7, v15
	v_fmac_f32_e32 v4, v18, v9
	v_fma_f32 v12, -v18, v9, v12
	ds_write_b64 v36, v[4:5] offset:512
	ds_write_b64 v6, v[12:13] offset:1152
	ds_read_b64 v[4:5], v36 offset:640
	ds_read_b64 v[12:13], v6 offset:1024
	s_waitcnt lgkmcnt(0)
	v_sub_f32_e32 v7, v4, v12
	v_add_f32_e32 v9, v5, v13
	v_sub_f32_e32 v5, v5, v13
	v_add_f32_e32 v12, v4, v12
	v_mul_f32_e32 v7, 0.5, v7
	v_mul_f32_e32 v9, 0.5, v9
	;; [unrolled: 1-line block ×3, first 2 shown]
	s_waitcnt vmcnt(0)
	v_mul_f32_e32 v13, v21, v7
	v_fma_f32 v14, v9, v21, v5
	v_fma_f32 v15, v9, v21, -v5
	v_fma_f32 v4, 0.5, v12, v13
	v_fma_f32 v12, v12, 0.5, -v13
	v_fma_f32 v5, -v20, v7, v14
	v_fma_f32 v13, -v20, v7, v15
	v_fmac_f32_e32 v4, v20, v9
	v_fma_f32 v12, -v20, v9, v12
	ds_write_b64 v36, v[4:5] offset:640
	ds_write_b64 v6, v[12:13] offset:1024
	v_cmpx_gt_u32_e32 0x68, v16
	s_cbranch_execz .LBB0_21
; %bb.20:
	global_load_dwordx2 v[2:3], v[2:3], off offset:768
	ds_read_b64 v[4:5], v36 offset:768
	ds_read_b64 v[12:13], v6 offset:896
	s_waitcnt lgkmcnt(0)
	v_sub_f32_e32 v7, v4, v12
	v_add_f32_e32 v9, v5, v13
	v_sub_f32_e32 v5, v5, v13
	v_add_f32_e32 v4, v4, v12
	v_mul_f32_e32 v7, 0.5, v7
	v_mul_f32_e32 v9, 0.5, v9
	v_mul_f32_e32 v5, 0.5, v5
	s_waitcnt vmcnt(0)
	v_mul_f32_e32 v12, v3, v7
	v_fma_f32 v13, v9, v3, v5
	v_fma_f32 v5, v9, v3, -v5
	v_fma_f32 v3, 0.5, v4, v12
	v_fma_f32 v12, v4, 0.5, -v12
	v_fma_f32 v4, -v2, v7, v13
	v_fma_f32 v13, -v2, v7, v5
	v_fmac_f32_e32 v3, v2, v9
	v_fma_f32 v12, -v2, v9, v12
	ds_write_b64 v36, v[3:4] offset:768
	ds_write_b64 v6, v[12:13] offset:896
.LBB0_21:
	s_or_b32 exec_lo, exec_lo, s1
	s_waitcnt lgkmcnt(0)
	s_barrier
	buffer_gl0_inv
	s_and_saveexec_b32 s0, vcc_lo
	s_cbranch_execz .LBB0_24
; %bb.22:
	ds_read2_b64 v[4:7], v36 offset1:16
	ds_read2_b64 v[12:15], v36 offset0:32 offset1:48
	ds_read2_b64 v[16:19], v36 offset0:64 offset1:80
	;; [unrolled: 1-line block ×4, first 2 shown]
	v_add_co_u32 v2, vcc_lo, s2, v10
	ds_read2_b64 v[28:31], v36 offset0:160 offset1:176
	ds_read_b64 v[9:10], v36 offset:1536
	v_add_co_ci_u32_e32 v3, vcc_lo, s3, v11, vcc_lo
	v_add_co_u32 v0, vcc_lo, v2, v0
	v_add_co_ci_u32_e32 v1, vcc_lo, v3, v1, vcc_lo
	v_cmp_eq_u32_e32 vcc_lo, 15, v8
	s_waitcnt lgkmcnt(6)
	global_store_dwordx2 v[0:1], v[4:5], off
	global_store_dwordx2 v[0:1], v[6:7], off offset:128
	s_waitcnt lgkmcnt(5)
	global_store_dwordx2 v[0:1], v[12:13], off offset:256
	global_store_dwordx2 v[0:1], v[14:15], off offset:384
	s_waitcnt lgkmcnt(4)
	global_store_dwordx2 v[0:1], v[16:17], off offset:512
	;; [unrolled: 3-line block ×6, first 2 shown]
	s_and_b32 exec_lo, exec_lo, vcc_lo
	s_cbranch_execz .LBB0_24
; %bb.23:
	ds_read_b64 v[0:1], v36 offset:1544
	s_waitcnt lgkmcnt(0)
	global_store_dwordx2 v[2:3], v[0:1], off offset:1664
.LBB0_24:
	s_endpgm
	.section	.rodata,"a",@progbits
	.p2align	6, 0x0
	.amdhsa_kernel fft_rtc_fwd_len208_factors_13_16_wgs_64_tpt_16_halfLds_sp_ip_CI_unitstride_sbrr_R2C_dirReg
		.amdhsa_group_segment_fixed_size 0
		.amdhsa_private_segment_fixed_size 0
		.amdhsa_kernarg_size 88
		.amdhsa_user_sgpr_count 6
		.amdhsa_user_sgpr_private_segment_buffer 1
		.amdhsa_user_sgpr_dispatch_ptr 0
		.amdhsa_user_sgpr_queue_ptr 0
		.amdhsa_user_sgpr_kernarg_segment_ptr 1
		.amdhsa_user_sgpr_dispatch_id 0
		.amdhsa_user_sgpr_flat_scratch_init 0
		.amdhsa_user_sgpr_private_segment_size 0
		.amdhsa_wavefront_size32 1
		.amdhsa_uses_dynamic_stack 0
		.amdhsa_system_sgpr_private_segment_wavefront_offset 0
		.amdhsa_system_sgpr_workgroup_id_x 1
		.amdhsa_system_sgpr_workgroup_id_y 0
		.amdhsa_system_sgpr_workgroup_id_z 0
		.amdhsa_system_sgpr_workgroup_info 0
		.amdhsa_system_vgpr_workitem_id 0
		.amdhsa_next_free_vgpr 61
		.amdhsa_next_free_sgpr 21
		.amdhsa_reserve_vcc 1
		.amdhsa_reserve_flat_scratch 0
		.amdhsa_float_round_mode_32 0
		.amdhsa_float_round_mode_16_64 0
		.amdhsa_float_denorm_mode_32 3
		.amdhsa_float_denorm_mode_16_64 3
		.amdhsa_dx10_clamp 1
		.amdhsa_ieee_mode 1
		.amdhsa_fp16_overflow 0
		.amdhsa_workgroup_processor_mode 1
		.amdhsa_memory_ordered 1
		.amdhsa_forward_progress 0
		.amdhsa_shared_vgpr_count 0
		.amdhsa_exception_fp_ieee_invalid_op 0
		.amdhsa_exception_fp_denorm_src 0
		.amdhsa_exception_fp_ieee_div_zero 0
		.amdhsa_exception_fp_ieee_overflow 0
		.amdhsa_exception_fp_ieee_underflow 0
		.amdhsa_exception_fp_ieee_inexact 0
		.amdhsa_exception_int_div_zero 0
	.end_amdhsa_kernel
	.text
.Lfunc_end0:
	.size	fft_rtc_fwd_len208_factors_13_16_wgs_64_tpt_16_halfLds_sp_ip_CI_unitstride_sbrr_R2C_dirReg, .Lfunc_end0-fft_rtc_fwd_len208_factors_13_16_wgs_64_tpt_16_halfLds_sp_ip_CI_unitstride_sbrr_R2C_dirReg
                                        ; -- End function
	.section	.AMDGPU.csdata,"",@progbits
; Kernel info:
; codeLenInByte = 7528
; NumSgprs: 23
; NumVgprs: 61
; ScratchSize: 0
; MemoryBound: 0
; FloatMode: 240
; IeeeMode: 1
; LDSByteSize: 0 bytes/workgroup (compile time only)
; SGPRBlocks: 2
; VGPRBlocks: 7
; NumSGPRsForWavesPerEU: 23
; NumVGPRsForWavesPerEU: 61
; Occupancy: 16
; WaveLimiterHint : 1
; COMPUTE_PGM_RSRC2:SCRATCH_EN: 0
; COMPUTE_PGM_RSRC2:USER_SGPR: 6
; COMPUTE_PGM_RSRC2:TRAP_HANDLER: 0
; COMPUTE_PGM_RSRC2:TGID_X_EN: 1
; COMPUTE_PGM_RSRC2:TGID_Y_EN: 0
; COMPUTE_PGM_RSRC2:TGID_Z_EN: 0
; COMPUTE_PGM_RSRC2:TIDIG_COMP_CNT: 0
	.text
	.p2alignl 6, 3214868480
	.fill 48, 4, 3214868480
	.type	__hip_cuid_93c2e417e1ab05ea,@object ; @__hip_cuid_93c2e417e1ab05ea
	.section	.bss,"aw",@nobits
	.globl	__hip_cuid_93c2e417e1ab05ea
__hip_cuid_93c2e417e1ab05ea:
	.byte	0                               ; 0x0
	.size	__hip_cuid_93c2e417e1ab05ea, 1

	.ident	"AMD clang version 19.0.0git (https://github.com/RadeonOpenCompute/llvm-project roc-6.4.0 25133 c7fe45cf4b819c5991fe208aaa96edf142730f1d)"
	.section	".note.GNU-stack","",@progbits
	.addrsig
	.addrsig_sym __hip_cuid_93c2e417e1ab05ea
	.amdgpu_metadata
---
amdhsa.kernels:
  - .args:
      - .actual_access:  read_only
        .address_space:  global
        .offset:         0
        .size:           8
        .value_kind:     global_buffer
      - .offset:         8
        .size:           8
        .value_kind:     by_value
      - .actual_access:  read_only
        .address_space:  global
        .offset:         16
        .size:           8
        .value_kind:     global_buffer
      - .actual_access:  read_only
        .address_space:  global
        .offset:         24
        .size:           8
        .value_kind:     global_buffer
      - .offset:         32
        .size:           8
        .value_kind:     by_value
      - .actual_access:  read_only
        .address_space:  global
        .offset:         40
        .size:           8
        .value_kind:     global_buffer
      - .actual_access:  read_only
        .address_space:  global
        .offset:         48
        .size:           8
        .value_kind:     global_buffer
      - .offset:         56
        .size:           4
        .value_kind:     by_value
      - .actual_access:  read_only
        .address_space:  global
        .offset:         64
        .size:           8
        .value_kind:     global_buffer
      - .actual_access:  read_only
        .address_space:  global
        .offset:         72
        .size:           8
        .value_kind:     global_buffer
      - .address_space:  global
        .offset:         80
        .size:           8
        .value_kind:     global_buffer
    .group_segment_fixed_size: 0
    .kernarg_segment_align: 8
    .kernarg_segment_size: 88
    .language:       OpenCL C
    .language_version:
      - 2
      - 0
    .max_flat_workgroup_size: 64
    .name:           fft_rtc_fwd_len208_factors_13_16_wgs_64_tpt_16_halfLds_sp_ip_CI_unitstride_sbrr_R2C_dirReg
    .private_segment_fixed_size: 0
    .sgpr_count:     23
    .sgpr_spill_count: 0
    .symbol:         fft_rtc_fwd_len208_factors_13_16_wgs_64_tpt_16_halfLds_sp_ip_CI_unitstride_sbrr_R2C_dirReg.kd
    .uniform_work_group_size: 1
    .uses_dynamic_stack: false
    .vgpr_count:     61
    .vgpr_spill_count: 0
    .wavefront_size: 32
    .workgroup_processor_mode: 1
amdhsa.target:   amdgcn-amd-amdhsa--gfx1030
amdhsa.version:
  - 1
  - 2
...

	.end_amdgpu_metadata
